;; amdgpu-corpus repo=ROCm/rocFFT kind=compiled arch=gfx906 opt=O3
	.text
	.amdgcn_target "amdgcn-amd-amdhsa--gfx906"
	.amdhsa_code_object_version 6
	.protected	fft_rtc_fwd_len52_factors_13_4_wgs_208_tpt_13_sp_ip_CI_sbcc_twdbase5_3step_dirReg_intrinsicReadWrite ; -- Begin function fft_rtc_fwd_len52_factors_13_4_wgs_208_tpt_13_sp_ip_CI_sbcc_twdbase5_3step_dirReg_intrinsicReadWrite
	.globl	fft_rtc_fwd_len52_factors_13_4_wgs_208_tpt_13_sp_ip_CI_sbcc_twdbase5_3step_dirReg_intrinsicReadWrite
	.p2align	8
	.type	fft_rtc_fwd_len52_factors_13_4_wgs_208_tpt_13_sp_ip_CI_sbcc_twdbase5_3step_dirReg_intrinsicReadWrite,@function
fft_rtc_fwd_len52_factors_13_4_wgs_208_tpt_13_sp_ip_CI_sbcc_twdbase5_3step_dirReg_intrinsicReadWrite: ; @fft_rtc_fwd_len52_factors_13_4_wgs_208_tpt_13_sp_ip_CI_sbcc_twdbase5_3step_dirReg_intrinsicReadWrite
; %bb.0:
	s_load_dwordx8 s[8:15], s[4:5], 0x8
	s_movk_i32 s0, 0x60
	v_cmp_gt_u32_e32 vcc, s0, v0
	s_and_saveexec_b64 s[0:1], vcc
	s_cbranch_execz .LBB0_2
; %bb.1:
	v_lshlrev_b32_e32 v3, 3, v0
	s_waitcnt lgkmcnt(0)
	global_load_dwordx2 v[1:2], v3, s[8:9]
	v_add_u32_e32 v3, 0, v3
	s_waitcnt vmcnt(0)
	ds_write_b64 v3, v[1:2] offset:6656
.LBB0_2:
	s_or_b64 exec, exec, s[0:1]
	s_waitcnt lgkmcnt(0)
	s_load_dwordx2 s[22:23], s[12:13], 0x8
	s_mov_b32 s7, 0
	s_mov_b64 s[24:25], 0
	s_waitcnt lgkmcnt(0)
	s_add_u32 s0, s22, -1
	s_addc_u32 s1, s23, -1
	s_lshr_b64 s[0:1], s[0:1], 4
	s_add_u32 s2, s0, 1
	s_addc_u32 s3, s1, 0
	v_mov_b32_e32 v1, s2
	v_mov_b32_e32 v2, s3
	v_cmp_lt_u64_e32 vcc, s[6:7], v[1:2]
	s_cbranch_vccnz .LBB0_4
; %bb.3:
	v_cvt_f32_u32_e32 v1, s2
	s_sub_i32 s0, 0, s2
	s_mov_b32 s25, s7
	v_rcp_iflag_f32_e32 v1, v1
	v_mul_f32_e32 v1, 0x4f7ffffe, v1
	v_cvt_u32_f32_e32 v1, v1
	v_readfirstlane_b32 s1, v1
	s_mul_i32 s0, s0, s1
	s_mul_hi_u32 s0, s1, s0
	s_add_i32 s1, s1, s0
	s_mul_hi_u32 s0, s6, s1
	s_mul_i32 s8, s0, s2
	s_sub_i32 s8, s6, s8
	s_add_i32 s1, s0, 1
	s_sub_i32 s9, s8, s2
	s_cmp_ge_u32 s8, s2
	s_cselect_b32 s0, s1, s0
	s_cselect_b32 s8, s9, s8
	s_add_i32 s1, s0, 1
	s_cmp_ge_u32 s8, s2
	s_cselect_b32 s24, s1, s0
.LBB0_4:
	s_load_dwordx4 s[16:19], s[14:15], 0x0
	s_mul_i32 s0, s24, s3
	s_mul_hi_u32 s1, s24, s2
	s_add_i32 s1, s1, s0
	s_mul_i32 s0, s24, s2
	s_sub_u32 s0, s6, s0
	s_subb_u32 s1, 0, s1
	v_mov_b32_e32 v1, s0
	v_alignbit_b32 v1, s1, v1, 28
	s_waitcnt lgkmcnt(0)
	v_mul_lo_u32 v1, s18, v1
	s_load_dwordx2 s[8:9], s[4:5], 0x58
	s_load_dwordx2 s[20:21], s[4:5], 0x0
	s_lshl_b64 s[4:5], s[0:1], 4
	s_mul_hi_u32 s0, s18, s4
	v_add_u32_e32 v1, s0, v1
	s_mul_i32 s0, s19, s4
	v_add_u32_e32 v3, s0, v1
	v_cmp_lt_u64_e64 s[0:1], s[10:11], 3
	s_mul_i32 s17, s18, s4
	v_mov_b32_e32 v5, s17
	s_and_b64 vcc, exec, s[0:1]
	s_cbranch_vccnz .LBB0_11
; %bb.5:
	s_add_u32 s26, s14, 16
	s_addc_u32 s27, s15, 0
	s_add_u32 s12, s12, 16
	v_mov_b32_e32 v1, s10
	s_addc_u32 s13, s13, 0
	s_mov_b64 s[28:29], 2
	s_mov_b32 s30, 0
	v_mov_b32_e32 v2, s11
	s_branch .LBB0_7
.LBB0_6:                                ;   in Loop: Header=BB0_7 Depth=1
	s_mul_i32 s3, s34, s3
	s_mul_hi_u32 s17, s34, s2
	s_add_i32 s3, s17, s3
	s_mul_i32 s17, s35, s2
	s_add_i32 s3, s3, s17
	s_mul_i32 s17, s0, s35
	s_mul_hi_u32 s19, s0, s34
	s_load_dwordx2 s[36:37], s[26:27], 0x0
	s_add_i32 s17, s19, s17
	s_mul_i32 s19, s1, s34
	s_add_i32 s17, s17, s19
	s_mul_i32 s19, s0, s34
	s_sub_u32 s19, s24, s19
	s_subb_u32 s17, s25, s17
	s_waitcnt lgkmcnt(0)
	s_mul_i32 s17, s36, s17
	s_mul_hi_u32 s24, s36, s19
	s_add_i32 s17, s24, s17
	s_mul_i32 s24, s37, s19
	s_add_i32 s17, s17, s24
	s_mul_i32 s19, s36, s19
	s_add_u32 s28, s28, 1
	v_mov_b32_e32 v4, s17
	v_add_co_u32_e32 v5, vcc, s19, v5
	s_addc_u32 s29, s29, 0
	v_addc_co_u32_e32 v3, vcc, v4, v3, vcc
	s_add_u32 s26, s26, 8
	s_addc_u32 s27, s27, 0
	v_cmp_ge_u64_e32 vcc, s[28:29], v[1:2]
	s_add_u32 s12, s12, 8
	s_mul_i32 s2, s34, s2
	s_addc_u32 s13, s13, 0
	s_mov_b64 s[24:25], s[0:1]
	s_cbranch_vccnz .LBB0_12
.LBB0_7:                                ; =>This Inner Loop Header: Depth=1
	s_load_dwordx2 s[34:35], s[12:13], 0x0
	s_waitcnt lgkmcnt(0)
	s_or_b64 s[0:1], s[24:25], s[34:35]
	s_mov_b32 s31, s1
	s_cmp_lg_u64 s[30:31], 0
	s_cbranch_scc0 .LBB0_9
; %bb.8:                                ;   in Loop: Header=BB0_7 Depth=1
	v_cvt_f32_u32_e32 v4, s34
	v_cvt_f32_u32_e32 v6, s35
	s_sub_u32 s0, 0, s34
	s_subb_u32 s1, 0, s35
	v_mac_f32_e32 v4, 0x4f800000, v6
	v_rcp_f32_e32 v4, v4
	v_mul_f32_e32 v4, 0x5f7ffffc, v4
	v_mul_f32_e32 v6, 0x2f800000, v4
	v_trunc_f32_e32 v6, v6
	v_mac_f32_e32 v4, 0xcf800000, v6
	v_cvt_u32_f32_e32 v6, v6
	v_cvt_u32_f32_e32 v4, v4
	v_readfirstlane_b32 s17, v6
	v_readfirstlane_b32 s19, v4
	s_mul_i32 s31, s0, s17
	s_mul_hi_u32 s36, s0, s19
	s_mul_i32 s33, s1, s19
	s_add_i32 s31, s36, s31
	s_mul_i32 s37, s0, s19
	s_add_i32 s31, s31, s33
	s_mul_hi_u32 s33, s19, s31
	s_mul_i32 s36, s19, s31
	s_mul_hi_u32 s19, s19, s37
	s_add_u32 s19, s19, s36
	s_addc_u32 s33, 0, s33
	s_mul_hi_u32 s38, s17, s37
	s_mul_i32 s37, s17, s37
	s_add_u32 s19, s19, s37
	s_mul_hi_u32 s36, s17, s31
	s_addc_u32 s19, s33, s38
	s_addc_u32 s33, s36, 0
	s_mul_i32 s31, s17, s31
	s_add_u32 s19, s19, s31
	s_addc_u32 s31, 0, s33
	v_add_co_u32_e32 v4, vcc, s19, v4
	s_cmp_lg_u64 vcc, 0
	s_addc_u32 s17, s17, s31
	v_readfirstlane_b32 s31, v4
	s_mul_i32 s19, s0, s17
	s_mul_hi_u32 s33, s0, s31
	s_add_i32 s19, s33, s19
	s_mul_i32 s1, s1, s31
	s_add_i32 s19, s19, s1
	s_mul_i32 s0, s0, s31
	s_mul_hi_u32 s33, s17, s0
	s_mul_i32 s36, s17, s0
	s_mul_i32 s38, s31, s19
	s_mul_hi_u32 s0, s31, s0
	s_mul_hi_u32 s37, s31, s19
	s_add_u32 s0, s0, s38
	s_addc_u32 s31, 0, s37
	s_add_u32 s0, s0, s36
	s_mul_hi_u32 s1, s17, s19
	s_addc_u32 s0, s31, s33
	s_addc_u32 s1, s1, 0
	s_mul_i32 s19, s17, s19
	s_add_u32 s0, s0, s19
	s_addc_u32 s1, 0, s1
	v_add_co_u32_e32 v4, vcc, s0, v4
	s_cmp_lg_u64 vcc, 0
	s_addc_u32 s0, s17, s1
	v_readfirstlane_b32 s19, v4
	s_mul_i32 s17, s24, s0
	s_mul_hi_u32 s31, s24, s19
	s_mul_hi_u32 s1, s24, s0
	s_add_u32 s17, s31, s17
	s_addc_u32 s1, 0, s1
	s_mul_hi_u32 s33, s25, s19
	s_mul_i32 s19, s25, s19
	s_add_u32 s17, s17, s19
	s_mul_hi_u32 s31, s25, s0
	s_addc_u32 s1, s1, s33
	s_addc_u32 s17, s31, 0
	s_mul_i32 s0, s25, s0
	s_add_u32 s19, s1, s0
	s_addc_u32 s17, 0, s17
	s_mul_i32 s0, s34, s17
	s_mul_hi_u32 s1, s34, s19
	s_add_i32 s0, s1, s0
	s_mul_i32 s1, s35, s19
	s_add_i32 s31, s0, s1
	s_mul_i32 s1, s34, s19
	v_mov_b32_e32 v4, s1
	s_sub_i32 s0, s25, s31
	v_sub_co_u32_e32 v4, vcc, s24, v4
	s_cmp_lg_u64 vcc, 0
	s_subb_u32 s33, s0, s35
	v_subrev_co_u32_e64 v6, s[0:1], s34, v4
	s_cmp_lg_u64 s[0:1], 0
	s_subb_u32 s0, s33, 0
	s_cmp_ge_u32 s0, s35
	v_readfirstlane_b32 s33, v6
	s_cselect_b32 s1, -1, 0
	s_cmp_ge_u32 s33, s34
	s_cselect_b32 s33, -1, 0
	s_cmp_eq_u32 s0, s35
	s_cselect_b32 s0, s33, s1
	s_add_u32 s1, s19, 1
	s_addc_u32 s33, s17, 0
	s_add_u32 s36, s19, 2
	s_addc_u32 s37, s17, 0
	s_cmp_lg_u32 s0, 0
	s_cselect_b32 s0, s36, s1
	s_cselect_b32 s1, s37, s33
	s_cmp_lg_u64 vcc, 0
	s_subb_u32 s31, s25, s31
	s_cmp_ge_u32 s31, s35
	v_readfirstlane_b32 s36, v4
	s_cselect_b32 s33, -1, 0
	s_cmp_ge_u32 s36, s34
	s_cselect_b32 s36, -1, 0
	s_cmp_eq_u32 s31, s35
	s_cselect_b32 s31, s36, s33
	s_cmp_lg_u32 s31, 0
	s_cselect_b32 s1, s1, s17
	s_cselect_b32 s0, s0, s19
	s_cbranch_execnz .LBB0_6
	s_branch .LBB0_10
.LBB0_9:                                ;   in Loop: Header=BB0_7 Depth=1
                                        ; implicit-def: $sgpr0_sgpr1
.LBB0_10:                               ;   in Loop: Header=BB0_7 Depth=1
	v_cvt_f32_u32_e32 v4, s34
	s_sub_i32 s0, 0, s34
	v_rcp_iflag_f32_e32 v4, v4
	v_mul_f32_e32 v4, 0x4f7ffffe, v4
	v_cvt_u32_f32_e32 v4, v4
	v_readfirstlane_b32 s1, v4
	s_mul_i32 s0, s0, s1
	s_mul_hi_u32 s0, s1, s0
	s_add_i32 s1, s1, s0
	s_mul_hi_u32 s0, s24, s1
	s_mul_i32 s17, s0, s34
	s_sub_i32 s17, s24, s17
	s_add_i32 s1, s0, 1
	s_sub_i32 s19, s17, s34
	s_cmp_ge_u32 s17, s34
	s_cselect_b32 s0, s1, s0
	s_cselect_b32 s17, s19, s17
	s_add_i32 s1, s0, 1
	s_cmp_ge_u32 s17, s34
	s_cselect_b32 s0, s1, s0
	s_mov_b32 s1, s30
	s_branch .LBB0_6
.LBB0_11:
	v_mov_b32_e32 v1, s24
	v_mov_b32_e32 v2, s25
	s_branch .LBB0_14
.LBB0_12:
	v_mov_b32_e32 v1, s2
	v_mov_b32_e32 v2, s3
	v_cmp_lt_u64_e32 vcc, s[6:7], v[1:2]
	v_mov_b32_e32 v1, 0
	v_mov_b32_e32 v2, 0
	s_cbranch_vccnz .LBB0_14
; %bb.13:
	v_cvt_f32_u32_e32 v1, s2
	s_sub_i32 s0, 0, s2
	v_rcp_iflag_f32_e32 v1, v1
	v_mul_f32_e32 v1, 0x4f7ffffe, v1
	v_cvt_u32_f32_e32 v1, v1
	v_mul_lo_u32 v2, s0, v1
	v_mul_hi_u32 v2, v1, v2
	v_add_u32_e32 v1, v1, v2
	v_mul_hi_u32 v1, s6, v1
	v_mul_lo_u32 v2, v1, s2
	v_add_u32_e32 v3, 1, v1
	v_sub_u32_e32 v2, s6, v2
	v_subrev_u32_e32 v4, s2, v2
	v_cmp_le_u32_e32 vcc, s2, v2
	v_cndmask_b32_e32 v2, v2, v4, vcc
	v_cndmask_b32_e32 v1, v1, v3, vcc
	v_add_u32_e32 v3, 1, v1
	v_cmp_le_u32_e32 vcc, s2, v2
	v_cndmask_b32_e32 v1, v1, v3, vcc
.LBB0_14:
	s_lshl_b64 s[0:1], s[10:11], 3
	s_add_u32 s0, s14, s0
	s_addc_u32 s1, s15, s1
	s_load_dword s0, s[0:1], 0x0
	v_mov_b32_e32 v6, s22
	v_and_b32_e32 v31, 15, v0
	v_mov_b32_e32 v7, s23
	v_mov_b32_e32 v4, s5
	s_waitcnt lgkmcnt(0)
	v_mul_lo_u32 v1, s0, v1
	s_add_u32 s0, s4, 16
	s_addc_u32 s1, s5, 0
	v_or_b32_e32 v3, s4, v31
	v_cmp_le_u64_e32 vcc, s[0:1], v[6:7]
	v_add_u32_e32 v5, v1, v5
	v_mad_u64_u32 v[1:2], s[0:1], s18, v31, 0
	v_cmp_gt_u64_e64 s[0:1], s[22:23], v[3:4]
	v_lshrrev_b32_e32 v30, 4, v0
	v_cmp_lt_u32_e64 s[4:5], 63, v0
	v_cmp_gt_u32_e64 s[2:3], 64, v0
	v_mul_lo_u32 v2, s16, v30
	v_cndmask_b32_e64 v6, 0, 1, s[2:3]
	v_cndmask_b32_e64 v4, 0, 1, s[0:1]
	s_or_b64 s[4:5], s[4:5], vcc
	v_cndmask_b32_e64 v4, v4, v6, s[4:5]
	v_and_b32_e32 v4, 1, v4
	v_cmp_eq_u32_e64 s[4:5], 1, v4
	v_add_u32_e32 v4, 4, v30
	v_add_lshl_u32 v6, v1, v2, 3
	v_lshlrev_b32_e32 v2, 3, v5
	v_mul_lo_u32 v4, s16, v4
	v_add_u32_e32 v5, 8, v30
	v_mul_lo_u32 v5, s16, v5
	v_cndmask_b32_e64 v32, -1, v6, s[4:5]
	v_add_lshl_u32 v4, v1, v4, 3
	v_cndmask_b32_e64 v33, -1, v4, s[4:5]
	v_add_lshl_u32 v4, v1, v5, 3
	v_add_u32_e32 v5, 12, v30
	v_mul_lo_u32 v5, s16, v5
	v_or_b32_e32 v6, 16, v30
	v_mul_lo_u32 v6, s16, v6
	v_cndmask_b32_e64 v34, -1, v4, s[4:5]
	v_add_lshl_u32 v4, v1, v5, 3
	v_add_u32_e32 v5, 20, v30
	v_cndmask_b32_e64 v35, -1, v4, s[4:5]
	v_add_lshl_u32 v4, v1, v6, 3
	v_mul_lo_u32 v5, s16, v5
	v_add_u32_e32 v6, 24, v30
	v_mul_lo_u32 v6, s16, v6
	v_cndmask_b32_e64 v36, -1, v4, s[4:5]
	v_add_lshl_u32 v4, v1, v5, 3
	v_add_u32_e32 v5, 28, v30
	v_cndmask_b32_e64 v37, -1, v4, s[4:5]
	v_add_lshl_u32 v4, v1, v6, 3
	v_mul_lo_u32 v5, s16, v5
	v_or_b32_e32 v6, 32, v30
	v_mul_lo_u32 v6, s16, v6
	v_cndmask_b32_e64 v38, -1, v4, s[4:5]
	v_add_lshl_u32 v4, v1, v5, 3
	v_add_u32_e32 v5, 36, v30
	v_cndmask_b32_e64 v39, -1, v4, s[4:5]
	v_add_lshl_u32 v4, v1, v6, 3
	v_mul_lo_u32 v5, s16, v5
	v_add_u32_e32 v6, 40, v30
	v_mul_lo_u32 v6, s16, v6
	v_cndmask_b32_e64 v40, -1, v4, s[4:5]
	v_add_lshl_u32 v4, v1, v5, 3
	v_add_u32_e32 v5, 44, v30
	v_cndmask_b32_e64 v41, -1, v4, s[4:5]
	v_add_lshl_u32 v4, v1, v6, 3
	v_mul_lo_u32 v5, s16, v5
	v_or_b32_e32 v6, 48, v30
	v_mul_lo_u32 v6, s16, v6
	v_cndmask_b32_e64 v42, -1, v4, s[4:5]
	v_add_lshl_u32 v4, v1, v5, 3
	s_mov_b32 s11, 0x20000
	s_mov_b32 s10, -2
	v_readfirstlane_b32 s6, v2
	v_cndmask_b32_e64 v43, -1, v4, s[4:5]
	v_add_lshl_u32 v4, v1, v6, 3
	v_cndmask_b32_e64 v44, -1, v4, s[4:5]
	s_nop 1
	buffer_load_dwordx2 v[4:5], v32, s[8:11], s6 offen
	buffer_load_dwordx2 v[6:7], v33, s[8:11], s6 offen
	;; [unrolled: 1-line block ×13, first 2 shown]
	v_lshlrev_b32_e32 v31, 3, v31
	s_and_saveexec_b64 s[4:5], s[2:3]
	s_cbranch_execz .LBB0_16
; %bb.15:
	s_waitcnt vmcnt(11)
	v_add_f32_e32 v34, v5, v7
	s_waitcnt vmcnt(10)
	v_add_f32_e32 v34, v34, v9
	v_add_f32_e32 v35, v4, v6
	s_waitcnt vmcnt(9)
	v_add_f32_e32 v34, v34, v13
	v_add_f32_e32 v35, v35, v8
	s_waitcnt vmcnt(8)
	v_add_f32_e32 v34, v34, v19
	v_add_f32_e32 v35, v35, v12
	s_waitcnt vmcnt(7)
	v_add_f32_e32 v34, v34, v23
	v_add_f32_e32 v35, v35, v18
	s_waitcnt vmcnt(6)
	v_add_f32_e32 v34, v34, v29
	v_add_f32_e32 v35, v35, v22
	s_waitcnt vmcnt(5)
	v_sub_f32_e32 v33, v28, v26
	v_add_f32_e32 v32, v27, v29
	v_add_f32_e32 v35, v35, v28
	;; [unrolled: 1-line block ×3, first 2 shown]
	v_sub_f32_e32 v28, v29, v27
	v_add_f32_e32 v27, v34, v27
	v_add_f32_e32 v26, v35, v26
	s_waitcnt vmcnt(4)
	v_sub_f32_e32 v29, v22, v24
	v_add_f32_e32 v34, v25, v23
	v_add_f32_e32 v35, v24, v22
	v_sub_f32_e32 v22, v23, v25
	v_add_f32_e32 v23, v27, v25
	v_add_f32_e32 v24, v26, v24
	s_waitcnt vmcnt(3)
	v_sub_f32_e32 v25, v18, v20
	v_add_f32_e32 v37, v21, v19
	v_add_f32_e32 v38, v20, v18
	;; [unrolled: 7-line block ×3, first 2 shown]
	s_waitcnt vmcnt(0)
	v_sub_f32_e32 v24, v6, v10
	v_add_f32_e32 v39, v17, v13
	v_sub_f32_e32 v23, v13, v17
	v_add_f32_e32 v13, v20, v16
	v_sub_f32_e32 v19, v8, v14
	v_add_f32_e32 v42, v14, v8
	v_add_f32_e32 v8, v12, v15
	v_mul_f32_e32 v27, 0xbe750f2a, v24
	v_add_f32_e32 v41, v15, v9
	v_sub_f32_e32 v20, v9, v15
	v_add_f32_e32 v9, v13, v14
	v_add_f32_e32 v43, v11, v7
	v_sub_f32_e32 v26, v7, v11
	v_add_f32_e32 v7, v8, v11
	v_mov_b32_e32 v8, v27
	v_mul_f32_e32 v45, 0x3eedf032, v19
	v_add_f32_e32 v44, v10, v6
	v_add_f32_e32 v6, v9, v10
	v_fmac_f32_e32 v8, 0xbf788fa5, v43
	v_mov_b32_e32 v9, v45
	v_add_f32_e32 v8, v5, v8
	v_fmac_f32_e32 v9, 0x3f62ad3f, v41
	v_mul_f32_e32 v46, 0xbf29c268, v21
	v_add_f32_e32 v8, v9, v8
	v_mov_b32_e32 v9, v46
	v_fmac_f32_e32 v9, 0xbf3f9e67, v39
	v_mul_f32_e32 v47, 0x3f52af12, v25
	v_add_f32_e32 v8, v9, v8
	v_mov_b32_e32 v9, v47
	v_fmac_f32_e32 v9, 0x3f116cb1, v37
	v_mul_f32_e32 v48, 0xbf6f5d39, v29
	v_add_f32_e32 v8, v9, v8
	v_mov_b32_e32 v9, v48
	v_fmac_f32_e32 v9, 0xbeb58ec6, v34
	s_mov_b32 s2, 0xbf788fa5
	v_mul_f32_e32 v49, 0xbe750f2a, v26
	v_add_f32_e32 v8, v9, v8
	s_mov_b32 s12, 0x3f62ad3f
	v_fma_f32 v9, v44, s2, -v49
	v_mul_f32_e32 v50, 0x3eedf032, v20
	v_add_f32_e32 v9, v4, v9
	v_fma_f32 v10, v42, s12, -v50
	s_mov_b32 s3, 0xbf3f9e67
	v_mul_f32_e32 v51, 0xbf29c268, v23
	v_add_f32_e32 v9, v10, v9
	v_fma_f32 v10, v40, s3, -v51
	s_mov_b32 s6, 0x3f116cb1
	;; [unrolled: 4-line block ×3, first 2 shown]
	v_mul_f32_e32 v53, 0xbf6f5d39, v22
	v_add_f32_e32 v9, v10, v9
	v_fma_f32 v10, v35, s7, -v53
	v_mul_f32_e32 v54, 0x3f7e222b, v33
	v_add_f32_e32 v10, v10, v9
	v_mov_b32_e32 v9, v54
	s_mov_b32 s13, 0x3df6dbef
	v_fmac_f32_e32 v9, 0x3df6dbef, v32
	v_mul_f32_e32 v55, 0x3f7e222b, v28
	v_add_f32_e32 v9, v9, v8
	v_fma_f32 v8, v36, s13, -v55
	v_mul_f32_e32 v56, 0xbf29c268, v24
	v_add_f32_e32 v8, v8, v10
	v_mov_b32_e32 v10, v56
	v_mul_f32_e32 v57, 0x3f7e222b, v19
	v_fmac_f32_e32 v10, 0xbf3f9e67, v43
	v_mov_b32_e32 v11, v57
	v_add_f32_e32 v10, v5, v10
	v_fmac_f32_e32 v11, 0x3df6dbef, v41
	v_mul_f32_e32 v58, 0xbf52af12, v21
	v_add_f32_e32 v10, v11, v10
	v_mov_b32_e32 v11, v58
	v_fmac_f32_e32 v11, 0x3f116cb1, v39
	v_mul_f32_e32 v59, 0x3e750f2a, v25
	v_add_f32_e32 v10, v11, v10
	v_mov_b32_e32 v11, v59
	v_fmac_f32_e32 v11, 0xbf788fa5, v37
	v_mul_f32_e32 v60, 0x3eedf032, v29
	v_add_f32_e32 v10, v11, v10
	v_mov_b32_e32 v11, v60
	v_fmac_f32_e32 v11, 0x3f62ad3f, v34
	v_mul_f32_e32 v61, 0xbf29c268, v26
	v_add_f32_e32 v10, v11, v10
	v_fma_f32 v11, v44, s3, -v61
	v_mul_f32_e32 v62, 0x3f7e222b, v20
	v_add_f32_e32 v11, v4, v11
	v_fma_f32 v12, v42, s13, -v62
	v_mul_f32_e32 v63, 0xbf52af12, v23
	v_add_f32_e32 v11, v12, v11
	v_fma_f32 v12, v40, s6, -v63
	v_mul_f32_e32 v64, 0x3e750f2a, v18
	v_add_f32_e32 v11, v12, v11
	v_fma_f32 v12, v38, s2, -v64
	v_mul_f32_e32 v65, 0x3eedf032, v22
	v_add_f32_e32 v11, v12, v11
	v_fma_f32 v12, v35, s12, -v65
	v_mul_f32_e32 v66, 0xbf6f5d39, v33
	v_add_f32_e32 v12, v12, v11
	v_mov_b32_e32 v11, v66
	v_fmac_f32_e32 v11, 0xbeb58ec6, v32
	v_mul_f32_e32 v67, 0xbf6f5d39, v28
	v_add_f32_e32 v11, v11, v10
	v_fma_f32 v10, v36, s7, -v67
	v_mul_f32_e32 v68, 0xbf6f5d39, v24
	v_add_f32_e32 v10, v10, v12
	v_mov_b32_e32 v12, v68
	v_mul_f32_e32 v69, 0x3f29c268, v19
	v_fmac_f32_e32 v12, 0xbeb58ec6, v43
	v_mov_b32_e32 v13, v69
	v_add_f32_e32 v12, v5, v12
	v_fmac_f32_e32 v13, 0xbf3f9e67, v41
	v_mul_f32_e32 v70, 0x3eedf032, v21
	v_add_f32_e32 v12, v13, v12
	v_mov_b32_e32 v13, v70
	v_fmac_f32_e32 v13, 0x3f62ad3f, v39
	v_mul_f32_e32 v71, 0xbf7e222b, v25
	v_add_f32_e32 v12, v13, v12
	v_mov_b32_e32 v13, v71
	v_fmac_f32_e32 v13, 0x3df6dbef, v37
	v_mul_f32_e32 v72, 0x3e750f2a, v29
	v_add_f32_e32 v12, v13, v12
	v_mov_b32_e32 v13, v72
	v_fmac_f32_e32 v13, 0xbf788fa5, v34
	v_mul_f32_e32 v73, 0xbf6f5d39, v26
	v_add_f32_e32 v12, v13, v12
	v_fma_f32 v13, v44, s7, -v73
	v_mul_f32_e32 v74, 0x3f29c268, v20
	v_add_f32_e32 v13, v4, v13
	v_fma_f32 v14, v42, s3, -v74
	v_mul_f32_e32 v75, 0x3eedf032, v23
	v_add_f32_e32 v13, v14, v13
	v_fma_f32 v14, v40, s12, -v75
	v_mul_f32_e32 v76, 0xbf7e222b, v18
	v_add_f32_e32 v13, v14, v13
	v_fma_f32 v14, v38, s13, -v76
	v_mul_f32_e32 v77, 0x3e750f2a, v22
	v_add_f32_e32 v13, v14, v13
	v_fma_f32 v14, v35, s2, -v77
	v_mul_f32_e32 v78, 0x3f52af12, v33
	v_add_f32_e32 v14, v14, v13
	v_mov_b32_e32 v13, v78
	;; [unrolled: 42-line block ×3, first 2 shown]
	v_fmac_f32_e32 v15, 0xbf3f9e67, v32
	v_mul_f32_e32 v91, 0xbf29c268, v28
	v_add_f32_e32 v15, v15, v14
	v_fma_f32 v14, v36, s3, -v91
	v_mul_f32_e32 v92, 0xbf52af12, v24
	v_add_f32_e32 v14, v14, v16
	v_mov_b32_e32 v16, v92
	v_mul_f32_e32 v93, 0xbf6f5d39, v19
	v_fmac_f32_e32 v16, 0x3f116cb1, v43
	v_mov_b32_e32 v17, v93
	v_add_f32_e32 v16, v5, v16
	v_fmac_f32_e32 v17, 0xbeb58ec6, v41
	v_mul_f32_e32 v94, 0xbe750f2a, v21
	v_add_f32_e32 v16, v17, v16
	v_mov_b32_e32 v17, v94
	v_fmac_f32_e32 v17, 0xbf788fa5, v39
	v_mul_f32_e32 v95, 0x3f29c268, v25
	v_add_f32_e32 v16, v17, v16
	v_mov_b32_e32 v17, v95
	;; [unrolled: 4-line block ×3, first 2 shown]
	v_fmac_f32_e32 v17, 0x3df6dbef, v34
	v_mul_f32_e32 v97, 0xbf52af12, v26
	v_add_f32_e32 v16, v17, v16
	v_fma_f32 v17, v44, s6, -v97
	v_mul_f32_e32 v98, 0xbf6f5d39, v20
	v_add_f32_e32 v17, v4, v17
	v_fma_f32 v99, v42, s7, -v98
	v_add_f32_e32 v17, v99, v17
	v_mul_f32_e32 v99, 0xbe750f2a, v23
	v_fma_f32 v100, v40, s2, -v99
	v_add_f32_e32 v17, v100, v17
	v_mul_f32_e32 v100, 0x3f29c268, v18
	v_fma_f32 v101, v38, s3, -v100
	v_add_f32_e32 v17, v101, v17
	v_mul_f32_e32 v101, 0x3f7e222b, v22
	v_fma_f32 v102, v35, s13, -v101
	v_mul_f32_e32 v103, 0x3eedf032, v33
	v_add_f32_e32 v102, v102, v17
	v_mov_b32_e32 v17, v103
	v_fmac_f32_e32 v17, 0x3f62ad3f, v32
	v_mul_f32_e32 v104, 0x3eedf032, v28
	v_add_f32_e32 v17, v17, v16
	v_fma_f32 v16, v36, s12, -v104
	v_add_f32_e32 v16, v16, v102
	v_mul_f32_e32 v102, 0xbeedf032, v24
	v_mov_b32_e32 v24, v102
	v_mul_f32_e32 v105, 0xbf52af12, v19
	v_fmac_f32_e32 v24, 0x3f62ad3f, v43
	v_mov_b32_e32 v19, v105
	v_mul_f32_e32 v106, 0xbf7e222b, v21
	v_add_f32_e32 v24, v5, v24
	v_fmac_f32_e32 v19, 0x3f116cb1, v41
	v_mov_b32_e32 v21, v106
	v_add_f32_e32 v19, v19, v24
	v_fmac_f32_e32 v21, 0x3df6dbef, v39
	v_mul_f32_e32 v107, 0xbf6f5d39, v25
	v_add_f32_e32 v19, v21, v19
	v_mov_b32_e32 v21, v107
	v_fmac_f32_e32 v21, 0xbeb58ec6, v37
	v_mul_f32_e32 v108, 0xbf29c268, v29
	v_add_f32_e32 v19, v21, v19
	v_mov_b32_e32 v21, v108
	v_fmac_f32_e32 v21, 0xbf3f9e67, v34
	v_mul_f32_e32 v109, 0xbeedf032, v26
	v_add_f32_e32 v19, v21, v19
	v_fma_f32 v21, v44, s12, -v109
	v_mul_f32_e32 v110, 0xbf52af12, v20
	v_add_f32_e32 v21, v4, v21
	v_fma_f32 v20, v42, s6, -v110
	;; [unrolled: 3-line block ×5, first 2 shown]
	v_mul_f32_e32 v33, 0xbe750f2a, v33
	v_add_f32_e32 v18, v20, v18
	v_mov_b32_e32 v20, v33
	v_fmac_f32_e32 v20, 0xbf788fa5, v32
	v_mul_f32_e32 v114, 0xbe750f2a, v28
	v_add_f32_e32 v19, v20, v19
	v_fma_f32 v20, v36, s2, -v114
	v_add_f32_e32 v18, v20, v18
	v_fma_f32 v20, v43, s2, -v27
	;; [unrolled: 2-line block ×6, first 2 shown]
	v_fmac_f32_e32 v49, 0xbf788fa5, v44
	v_add_f32_e32 v20, v21, v20
	v_add_f32_e32 v21, v4, v49
	v_fmac_f32_e32 v50, 0x3f62ad3f, v42
	v_add_f32_e32 v21, v50, v21
	v_fmac_f32_e32 v51, 0xbf3f9e67, v40
	v_add_f32_e32 v21, v51, v21
	v_fmac_f32_e32 v52, 0x3f116cb1, v38
	v_add_f32_e32 v21, v52, v21
	v_fmac_f32_e32 v53, 0xbeb58ec6, v35
	v_add_f32_e32 v22, v53, v21
	v_fma_f32 v21, v32, s13, -v54
	v_fmac_f32_e32 v55, 0x3df6dbef, v36
	v_add_f32_e32 v21, v21, v20
	v_add_f32_e32 v20, v55, v22
	v_fma_f32 v22, v43, s3, -v56
	v_add_f32_e32 v22, v5, v22
	v_fma_f32 v23, v41, s13, -v57
	v_add_f32_e32 v22, v23, v22
	v_fma_f32 v23, v39, s6, -v58
	v_add_f32_e32 v22, v23, v22
	v_fma_f32 v23, v37, s2, -v59
	v_add_f32_e32 v22, v23, v22
	v_fma_f32 v23, v34, s12, -v60
	v_fmac_f32_e32 v61, 0xbf3f9e67, v44
	v_add_f32_e32 v22, v23, v22
	v_add_f32_e32 v23, v4, v61
	v_fmac_f32_e32 v62, 0x3df6dbef, v42
	v_add_f32_e32 v23, v62, v23
	v_fmac_f32_e32 v63, 0x3f116cb1, v40
	v_add_f32_e32 v23, v63, v23
	v_fmac_f32_e32 v64, 0xbf788fa5, v38
	v_add_f32_e32 v23, v64, v23
	v_fmac_f32_e32 v65, 0x3f62ad3f, v35
	v_add_f32_e32 v24, v65, v23
	v_fma_f32 v23, v32, s7, -v66
	v_fmac_f32_e32 v67, 0xbeb58ec6, v36
	v_add_f32_e32 v23, v23, v22
	v_add_f32_e32 v22, v67, v24
	v_fma_f32 v24, v43, s7, -v68
	v_add_f32_e32 v24, v5, v24
	v_fma_f32 v25, v41, s3, -v69
	v_add_f32_e32 v24, v25, v24
	v_fma_f32 v25, v39, s12, -v70
	v_add_f32_e32 v24, v25, v24
	v_fma_f32 v25, v37, s13, -v71
	v_add_f32_e32 v24, v25, v24
	v_fma_f32 v25, v34, s2, -v72
	;; [unrolled: 24-line block ×4, first 2 shown]
	v_fmac_f32_e32 v97, 0x3f116cb1, v44
	v_fma_f32 v43, v43, s12, -v102
	v_add_f32_e32 v28, v29, v28
	v_add_f32_e32 v29, v4, v97
	v_fmac_f32_e32 v98, 0xbeb58ec6, v42
	v_add_f32_e32 v5, v5, v43
	v_fma_f32 v41, v41, s6, -v105
	v_add_f32_e32 v29, v98, v29
	v_fmac_f32_e32 v99, 0xbf788fa5, v40
	v_fmac_f32_e32 v109, 0x3f62ad3f, v44
	v_add_f32_e32 v5, v41, v5
	v_fma_f32 v39, v39, s13, -v106
	v_add_f32_e32 v29, v99, v29
	v_fmac_f32_e32 v100, 0xbf3f9e67, v38
	v_add_f32_e32 v4, v4, v109
	v_add_f32_e32 v5, v39, v5
	v_fma_f32 v37, v37, s7, -v107
	v_fmac_f32_e32 v110, 0x3f116cb1, v42
	v_add_f32_e32 v29, v100, v29
	v_fmac_f32_e32 v101, 0x3df6dbef, v35
	v_add_f32_e32 v5, v37, v5
	v_fma_f32 v34, v34, s3, -v108
	v_add_f32_e32 v4, v110, v4
	v_fmac_f32_e32 v111, 0x3df6dbef, v40
	v_add_f32_e32 v45, v101, v29
	v_fma_f32 v29, v32, s12, -v103
	v_add_f32_e32 v5, v34, v5
	v_fma_f32 v32, v32, s2, -v33
	v_add_f32_e32 v4, v111, v4
	v_fmac_f32_e32 v112, 0xbeb58ec6, v38
	v_add_f32_e32 v4, v112, v4
	v_fmac_f32_e32 v113, 0xbf3f9e67, v35
	v_add_f32_e32 v5, v32, v5
	v_mul_u32_u24_e32 v32, 0x680, v30
	v_fmac_f32_e32 v104, 0x3f62ad3f, v36
	v_add_f32_e32 v4, v113, v4
	v_fmac_f32_e32 v114, 0xbf788fa5, v36
	v_add3_u32 v32, 0, v32, v31
	v_add_f32_e32 v29, v29, v28
	v_add_f32_e32 v28, v104, v45
	;; [unrolled: 1-line block ×3, first 2 shown]
	ds_write2_b64 v32, v[6:7], v[18:19] offset1:16
	ds_write2_b64 v32, v[16:17], v[14:15] offset0:32 offset1:48
	ds_write2_b64 v32, v[12:13], v[10:11] offset0:64 offset1:80
	;; [unrolled: 1-line block ×5, first 2 shown]
	ds_write_b64 v32, v[4:5] offset:1536
.LBB0_16:
	s_or_b64 exec, exec, s[4:5]
	s_mov_b32 s2, 0x13b13b14
	s_waitcnt vmcnt(12)
	v_mul_hi_u32 v4, v30, s2
	s_waitcnt vmcnt(0) lgkmcnt(0)
	s_barrier
	v_mul_u32_u24_e32 v4, 13, v4
	v_sub_u32_e32 v34, v30, v4
	v_mul_u32_u24_e32 v4, 3, v34
	v_lshlrev_b32_e32 v8, 3, v4
	global_load_dwordx4 v[4:7], v8, s[20:21]
	global_load_dwordx2 v[16:17], v8, s[20:21] offset:16
	v_mul_lo_u32 v35, v3, 13
	v_mul_lo_u32 v3, v34, v3
	v_lshlrev_b32_e32 v8, 7, v30
	s_add_i32 s2, 0, 0x1a00
	v_add3_u32 v12, 0, v8, v31
	v_and_b32_e32 v18, 31, v3
	v_lshrrev_b32_e32 v19, 2, v3
	v_lshrrev_b32_e32 v20, 7, v3
	v_add_u32_e32 v3, v3, v35
	v_and_b32_e32 v20, 0xf8, v20
	v_and_b32_e32 v21, 31, v3
	ds_read2_b64 v[8:11], v12 offset1:208
	v_add_u32_e32 v12, 0xc00, v12
	v_lshl_add_u32 v18, v18, 3, 0
	v_and_b32_e32 v19, 0xf8, v19
	v_lshrrev_b32_e32 v22, 2, v3
	v_lshrrev_b32_e32 v23, 7, v3
	v_add_u32_e32 v36, v3, v35
	v_add_u32_e32 v24, s2, v20
	v_lshl_add_u32 v25, v21, 3, 0
	ds_read2_b64 v[12:15], v12 offset0:32 offset1:240
	v_add_u32_e32 v3, s2, v19
	v_and_b32_e32 v26, 0xf8, v22
	v_and_b32_e32 v27, 0xf8, v23
	v_lshrrev_b32_e32 v29, 2, v36
	ds_read_b64 v[18:19], v18 offset:6656
	ds_read_b64 v[20:21], v3 offset:256
	;; [unrolled: 1-line block ×4, first 2 shown]
	v_and_b32_e32 v28, 31, v36
	v_add_u32_e32 v3, s2, v26
	v_and_b32_e32 v26, 0xf8, v29
	v_add_u32_e32 v30, s2, v27
	v_lshl_add_u32 v31, v28, 3, 0
	v_add_u32_e32 v32, s2, v26
	ds_read_b64 v[26:27], v3 offset:256
	ds_read_b64 v[28:29], v30 offset:512
	;; [unrolled: 1-line block ×4, first 2 shown]
	s_waitcnt lgkmcnt(6)
	v_mul_f32_e32 v3, v19, v21
	v_mul_f32_e32 v21, v18, v21
	v_fmac_f32_e32 v21, v19, v20
	s_waitcnt lgkmcnt(3)
	v_mul_f32_e32 v19, v24, v27
	v_fma_f32 v3, v18, v20, -v3
	v_mul_f32_e32 v18, v25, v27
	v_mul_f32_e32 v20, v21, v23
	v_fmac_f32_e32 v19, v25, v26
	v_mul_f32_e32 v23, v3, v23
	v_fma_f32 v18, v24, v26, -v18
	v_fma_f32 v20, v22, v3, -v20
	s_waitcnt lgkmcnt(2)
	v_mul_f32_e32 v3, v19, v29
	v_fmac_f32_e32 v23, v22, v21
	v_mul_f32_e32 v21, v18, v29
	v_fma_f32 v18, v28, v18, -v3
	v_fmac_f32_e32 v21, v28, v19
	s_waitcnt lgkmcnt(0)
	v_mul_f32_e32 v19, v30, v33
	v_fmac_f32_e32 v19, v31, v32
	s_or_b64 vcc, vcc, s[0:1]
	v_readfirstlane_b32 s0, v2
	s_waitcnt vmcnt(1)
	v_mul_f32_e32 v3, v5, v11
	v_mul_f32_e32 v5, v5, v10
	;; [unrolled: 1-line block ×4, first 2 shown]
	s_waitcnt vmcnt(0)
	v_mul_f32_e32 v24, v17, v15
	v_mul_f32_e32 v17, v17, v14
	v_fma_f32 v3, v4, v10, -v3
	v_fmac_f32_e32 v5, v4, v11
	v_fma_f32 v4, v6, v12, -v22
	v_fmac_f32_e32 v7, v6, v13
	;; [unrolled: 2-line block ×3, first 2 shown]
	v_sub_f32_e32 v4, v8, v4
	v_sub_f32_e32 v6, v3, v6
	v_sub_f32_e32 v7, v9, v7
	v_sub_f32_e32 v10, v5, v17
	v_fma_f32 v8, v8, 2.0, -v4
	v_fma_f32 v3, v3, 2.0, -v6
	;; [unrolled: 1-line block ×4, first 2 shown]
	v_sub_f32_e32 v17, v8, v3
	v_sub_f32_e32 v15, v4, v10
	v_add_f32_e32 v16, v7, v6
	v_sub_f32_e32 v22, v9, v5
	v_fma_f32 v3, v8, 2.0, -v17
	v_fma_f32 v6, v4, 2.0, -v15
	;; [unrolled: 1-line block ×4, first 2 shown]
	v_mul_f32_e32 v4, v3, v23
	v_mul_f32_e32 v8, v5, v23
	v_fmac_f32_e32 v4, v5, v20
	v_mul_f32_e32 v5, v7, v21
	v_fma_f32 v5, v6, v18, -v5
	v_mul_f32_e32 v6, v6, v21
	v_fmac_f32_e32 v6, v7, v18
	v_mul_f32_e32 v7, v31, v33
	v_fma_f32 v3, v3, v20, -v8
	v_fma_f32 v18, v30, v32, -v7
	v_lshrrev_b32_e32 v7, 7, v36
	v_add_u32_e32 v8, v36, v35
	v_and_b32_e32 v7, 0xf8, v7
	v_lshrrev_b32_e32 v10, 2, v8
	v_add_u32_e32 v7, s2, v7
	v_and_b32_e32 v9, 31, v8
	v_and_b32_e32 v10, 0xf8, v10
	v_lshrrev_b32_e32 v8, 7, v8
	v_add_u32_e32 v11, s2, v10
	v_and_b32_e32 v10, 0xf8, v8
	ds_read_b64 v[7:8], v7 offset:512
	v_lshl_add_u32 v9, v9, 3, 0
	v_add_u32_e32 v13, s2, v10
	ds_read_b64 v[9:10], v9 offset:6656
	ds_read_b64 v[11:12], v11 offset:256
	;; [unrolled: 1-line block ×3, first 2 shown]
	s_mov_b32 s2, 0x13b13b2
	s_waitcnt lgkmcnt(3)
	v_mul_f32_e32 v20, v19, v8
	v_mul_f32_e32 v8, v18, v8
	v_fmac_f32_e32 v8, v7, v19
	v_mul_hi_u32 v0, v0, s2
	v_fma_f32 v20, v7, v18, -v20
	v_mul_f32_e32 v7, v22, v8
	v_fma_f32 v7, v17, v20, -v7
	v_mul_f32_e32 v8, v17, v8
	s_waitcnt lgkmcnt(1)
	v_mul_f32_e32 v17, v10, v12
	v_fma_f32 v17, v9, v11, -v17
	v_mul_f32_e32 v9, v9, v12
	v_fmac_f32_e32 v9, v10, v11
	v_mad_u32_u24 v0, v0, 52, v34
	s_waitcnt lgkmcnt(0)
	v_mul_f32_e32 v10, v9, v14
	v_mul_lo_u32 v12, s16, v0
	v_fma_f32 v11, v13, v17, -v10
	v_mul_f32_e32 v10, v17, v14
	v_fmac_f32_e32 v10, v13, v9
	v_mul_f32_e32 v9, v16, v10
	v_mul_f32_e32 v10, v15, v10
	v_fma_f32 v9, v15, v11, -v9
	v_fmac_f32_e32 v10, v16, v11
	v_add_lshl_u32 v11, v1, v12, 3
	v_add_u32_e32 v12, 13, v0
	v_mul_lo_u32 v12, s16, v12
	v_cndmask_b32_e32 v11, -1, v11, vcc
	buffer_store_dwordx2 v[3:4], v11, s[8:11], s0 offen
	v_add_u32_e32 v3, 26, v0
	v_add_u32_e32 v0, 39, v0
	v_mul_lo_u32 v3, s16, v3
	v_mul_lo_u32 v0, s16, v0
	v_add_lshl_u32 v2, v1, v12, 3
	v_cndmask_b32_e32 v2, -1, v2, vcc
	buffer_store_dwordx2 v[5:6], v2, s[8:11], s0 offen
	v_add_lshl_u32 v2, v1, v3, 3
	v_add_lshl_u32 v0, v1, v0, 3
	v_fmac_f32_e32 v8, v22, v20
	v_cndmask_b32_e32 v2, -1, v2, vcc
	v_cndmask_b32_e32 v0, -1, v0, vcc
	buffer_store_dwordx2 v[7:8], v2, s[8:11], s0 offen
	buffer_store_dwordx2 v[9:10], v0, s[8:11], s0 offen
	s_endpgm
	.section	.rodata,"a",@progbits
	.p2align	6, 0x0
	.amdhsa_kernel fft_rtc_fwd_len52_factors_13_4_wgs_208_tpt_13_sp_ip_CI_sbcc_twdbase5_3step_dirReg_intrinsicReadWrite
		.amdhsa_group_segment_fixed_size 0
		.amdhsa_private_segment_fixed_size 0
		.amdhsa_kernarg_size 96
		.amdhsa_user_sgpr_count 6
		.amdhsa_user_sgpr_private_segment_buffer 1
		.amdhsa_user_sgpr_dispatch_ptr 0
		.amdhsa_user_sgpr_queue_ptr 0
		.amdhsa_user_sgpr_kernarg_segment_ptr 1
		.amdhsa_user_sgpr_dispatch_id 0
		.amdhsa_user_sgpr_flat_scratch_init 0
		.amdhsa_user_sgpr_private_segment_size 0
		.amdhsa_uses_dynamic_stack 0
		.amdhsa_system_sgpr_private_segment_wavefront_offset 0
		.amdhsa_system_sgpr_workgroup_id_x 1
		.amdhsa_system_sgpr_workgroup_id_y 0
		.amdhsa_system_sgpr_workgroup_id_z 0
		.amdhsa_system_sgpr_workgroup_info 0
		.amdhsa_system_vgpr_workitem_id 0
		.amdhsa_next_free_vgpr 115
		.amdhsa_next_free_sgpr 39
		.amdhsa_reserve_vcc 1
		.amdhsa_reserve_flat_scratch 0
		.amdhsa_float_round_mode_32 0
		.amdhsa_float_round_mode_16_64 0
		.amdhsa_float_denorm_mode_32 3
		.amdhsa_float_denorm_mode_16_64 3
		.amdhsa_dx10_clamp 1
		.amdhsa_ieee_mode 1
		.amdhsa_fp16_overflow 0
		.amdhsa_exception_fp_ieee_invalid_op 0
		.amdhsa_exception_fp_denorm_src 0
		.amdhsa_exception_fp_ieee_div_zero 0
		.amdhsa_exception_fp_ieee_overflow 0
		.amdhsa_exception_fp_ieee_underflow 0
		.amdhsa_exception_fp_ieee_inexact 0
		.amdhsa_exception_int_div_zero 0
	.end_amdhsa_kernel
	.text
.Lfunc_end0:
	.size	fft_rtc_fwd_len52_factors_13_4_wgs_208_tpt_13_sp_ip_CI_sbcc_twdbase5_3step_dirReg_intrinsicReadWrite, .Lfunc_end0-fft_rtc_fwd_len52_factors_13_4_wgs_208_tpt_13_sp_ip_CI_sbcc_twdbase5_3step_dirReg_intrinsicReadWrite
                                        ; -- End function
	.section	.AMDGPU.csdata,"",@progbits
; Kernel info:
; codeLenInByte = 5692
; NumSgprs: 43
; NumVgprs: 115
; ScratchSize: 0
; MemoryBound: 0
; FloatMode: 240
; IeeeMode: 1
; LDSByteSize: 0 bytes/workgroup (compile time only)
; SGPRBlocks: 5
; VGPRBlocks: 28
; NumSGPRsForWavesPerEU: 43
; NumVGPRsForWavesPerEU: 115
; Occupancy: 2
; WaveLimiterHint : 0
; COMPUTE_PGM_RSRC2:SCRATCH_EN: 0
; COMPUTE_PGM_RSRC2:USER_SGPR: 6
; COMPUTE_PGM_RSRC2:TRAP_HANDLER: 0
; COMPUTE_PGM_RSRC2:TGID_X_EN: 1
; COMPUTE_PGM_RSRC2:TGID_Y_EN: 0
; COMPUTE_PGM_RSRC2:TGID_Z_EN: 0
; COMPUTE_PGM_RSRC2:TIDIG_COMP_CNT: 0
	.type	__hip_cuid_535b447a0e161841,@object ; @__hip_cuid_535b447a0e161841
	.section	.bss,"aw",@nobits
	.globl	__hip_cuid_535b447a0e161841
__hip_cuid_535b447a0e161841:
	.byte	0                               ; 0x0
	.size	__hip_cuid_535b447a0e161841, 1

	.ident	"AMD clang version 19.0.0git (https://github.com/RadeonOpenCompute/llvm-project roc-6.4.0 25133 c7fe45cf4b819c5991fe208aaa96edf142730f1d)"
	.section	".note.GNU-stack","",@progbits
	.addrsig
	.addrsig_sym __hip_cuid_535b447a0e161841
	.amdgpu_metadata
---
amdhsa.kernels:
  - .args:
      - .actual_access:  read_only
        .address_space:  global
        .offset:         0
        .size:           8
        .value_kind:     global_buffer
      - .address_space:  global
        .offset:         8
        .size:           8
        .value_kind:     global_buffer
      - .offset:         16
        .size:           8
        .value_kind:     by_value
      - .actual_access:  read_only
        .address_space:  global
        .offset:         24
        .size:           8
        .value_kind:     global_buffer
      - .actual_access:  read_only
        .address_space:  global
        .offset:         32
        .size:           8
        .value_kind:     global_buffer
      - .offset:         40
        .size:           8
        .value_kind:     by_value
      - .actual_access:  read_only
        .address_space:  global
        .offset:         48
        .size:           8
        .value_kind:     global_buffer
      - .actual_access:  read_only
        .address_space:  global
        .offset:         56
        .size:           8
        .value_kind:     global_buffer
      - .offset:         64
        .size:           4
        .value_kind:     by_value
      - .actual_access:  read_only
        .address_space:  global
        .offset:         72
        .size:           8
        .value_kind:     global_buffer
      - .actual_access:  read_only
        .address_space:  global
        .offset:         80
        .size:           8
        .value_kind:     global_buffer
      - .address_space:  global
        .offset:         88
        .size:           8
        .value_kind:     global_buffer
    .group_segment_fixed_size: 0
    .kernarg_segment_align: 8
    .kernarg_segment_size: 96
    .language:       OpenCL C
    .language_version:
      - 2
      - 0
    .max_flat_workgroup_size: 208
    .name:           fft_rtc_fwd_len52_factors_13_4_wgs_208_tpt_13_sp_ip_CI_sbcc_twdbase5_3step_dirReg_intrinsicReadWrite
    .private_segment_fixed_size: 0
    .sgpr_count:     43
    .sgpr_spill_count: 0
    .symbol:         fft_rtc_fwd_len52_factors_13_4_wgs_208_tpt_13_sp_ip_CI_sbcc_twdbase5_3step_dirReg_intrinsicReadWrite.kd
    .uniform_work_group_size: 1
    .uses_dynamic_stack: false
    .vgpr_count:     115
    .vgpr_spill_count: 0
    .wavefront_size: 64
amdhsa.target:   amdgcn-amd-amdhsa--gfx906
amdhsa.version:
  - 1
  - 2
...

	.end_amdgpu_metadata
